;; amdgpu-corpus repo=ROCm/rocFFT kind=compiled arch=gfx950 opt=O3
	.text
	.amdgcn_target "amdgcn-amd-amdhsa--gfx950"
	.amdhsa_code_object_version 6
	.protected	bluestein_single_back_len1792_dim1_dp_op_CI_CI ; -- Begin function bluestein_single_back_len1792_dim1_dp_op_CI_CI
	.globl	bluestein_single_back_len1792_dim1_dp_op_CI_CI
	.p2align	8
	.type	bluestein_single_back_len1792_dim1_dp_op_CI_CI,@function
bluestein_single_back_len1792_dim1_dp_op_CI_CI: ; @bluestein_single_back_len1792_dim1_dp_op_CI_CI
; %bb.0:
	s_load_dwordx4 s[12:15], s[0:1], 0x28
	v_mul_u32_u24_e32 v1, 0x125, v0
	v_mov_b32_e32 v187, 0
	v_add_u32_sdwa v188, s2, v1 dst_sel:DWORD dst_unused:UNUSED_PAD src0_sel:DWORD src1_sel:WORD_1
	v_mov_b32_e32 v189, v187
	s_waitcnt lgkmcnt(0)
	v_cmp_gt_u64_e32 vcc, s[12:13], v[188:189]
	s_and_saveexec_b64 s[2:3], vcc
	s_cbranch_execz .LBB0_10
; %bb.1:
	s_load_dwordx4 s[4:7], s[0:1], 0x18
	s_load_dwordx4 s[8:11], s[0:1], 0x0
	v_mov_b32_e32 v2, s14
	v_mov_b32_e32 v3, s15
	s_movk_i32 s2, 0xe0
	s_waitcnt lgkmcnt(0)
	s_load_dwordx4 s[12:15], s[4:5], 0x0
	v_mul_lo_u16_sdwa v1, v1, s2 dst_sel:DWORD dst_unused:UNUSED_PAD src0_sel:WORD_1 src1_sel:DWORD
	v_sub_u16_e32 v186, v0, v1
	v_mov_b32_e32 v56, 0x1c00
	v_lshlrev_b32_e32 v184, 4, v186
	s_waitcnt lgkmcnt(0)
	v_mad_u64_u32 v[0:1], s[2:3], s14, v188, 0
	v_mov_b32_e32 v4, v1
	v_mad_u64_u32 v[4:5], s[2:3], s15, v188, v[4:5]
	v_mov_b32_e32 v1, v4
	v_mad_u64_u32 v[4:5], s[2:3], s12, v186, 0
	v_mov_b32_e32 v6, v5
	v_mad_u64_u32 v[6:7], s[2:3], s13, v186, v[6:7]
	v_mov_b32_e32 v5, v6
	v_lshl_add_u64 v[0:1], v[0:1], 4, v[2:3]
	v_lshl_add_u64 v[4:5], v[4:5], 4, v[0:1]
	global_load_dwordx4 v[32:35], v[4:5], off
	v_mad_u64_u32 v[4:5], s[2:3], s12, v56, v[4:5]
	v_mov_b32_e32 v185, v187
	s_mul_i32 s3, s13, 0x1c00
	v_lshl_add_u64 v[28:29], s[8:9], 0, v[184:185]
	v_add_u32_e32 v5, s3, v5
	s_movk_i32 s2, 0x1000
	v_add_co_u32_e32 v8, vcc, s2, v28
	v_mad_u64_u32 v[10:11], s[4:5], s12, v56, v[4:5]
	s_nop 0
	v_addc_co_u32_e32 v9, vcc, 0, v29, vcc
	v_add_u32_e32 v11, s3, v11
	s_movk_i32 s4, 0x3000
	global_load_dwordx4 v[0:3], v184, s[8:9]
	v_add_co_u32_e32 v16, vcc, s4, v28
	v_mad_u64_u32 v[20:21], s[4:5], s12, v56, v[10:11]
	global_load_dwordx4 v[36:39], v[4:5], off
	global_load_dwordx4 v[40:43], v[10:11], off
	v_addc_co_u32_e32 v17, vcc, 0, v29, vcc
	global_load_dwordx4 v[12:15], v[8:9], off offset:3072
	global_load_dwordx4 v[4:7], v[16:17], off offset:2048
	v_add_u32_e32 v21, s3, v21
	s_movk_i32 s4, 0x5000
	v_mov_b32_e32 v16, 0xffffba00
	v_add_co_u32_e32 v8, vcc, s4, v28
	v_mad_u64_u32 v[22:23], s[4:5], s12, v16, v[20:21]
	s_mul_i32 s4, s13, 0xffffba00
	s_sub_i32 s4, s4, s12
	v_addc_co_u32_e32 v9, vcc, 0, v29, vcc
	v_add_u32_e32 v23, s4, v23
	global_load_dwordx4 v[8:11], v[8:9], off offset:1024
	v_mad_u64_u32 v[24:25], s[4:5], s12, v56, v[22:23]
	v_add_u32_e32 v25, s3, v25
	s_movk_i32 s4, 0x2000
	global_load_dwordx4 v[44:47], v[20:21], off
	global_load_dwordx4 v[48:51], v[22:23], off
	global_load_dwordx4 v[16:19], v184, s[8:9] offset:3584
	v_add_co_u32_e32 v20, vcc, s4, v28
	v_mad_u64_u32 v[30:31], s[4:5], s12, v56, v[24:25]
	s_nop 0
	v_addc_co_u32_e32 v21, vcc, 0, v29, vcc
	v_add_u32_e32 v31, s3, v31
	s_movk_i32 s4, 0x4000
	global_load_dwordx4 v[52:55], v[24:25], off
	global_load_dwordx4 v[58:61], v[30:31], off
	v_add_co_u32_e32 v24, vcc, s4, v28
	global_load_dwordx4 v[20:23], v[20:21], off offset:2560
	v_mad_u64_u32 v[30:31], s[4:5], s12, v56, v[30:31]
	v_addc_co_u32_e32 v25, vcc, 0, v29, vcc
	v_add_u32_e32 v31, s3, v31
	s_movk_i32 s3, 0x6000
	global_load_dwordx4 v[24:27], v[24:25], off offset:1536
	v_add_co_u32_e32 v28, vcc, s3, v28
	global_load_dwordx4 v[62:65], v[30:31], off
	s_nop 0
	v_addc_co_u32_e32 v29, vcc, 0, v29, vcc
	global_load_dwordx4 v[28:31], v[28:29], off offset:512
	s_load_dwordx4 s[4:7], s[6:7], 0x0
	s_mov_b64 s[12:13], 0xe0
	v_lshlrev_b32_e32 v185, 6, v186
	v_lshl_add_u64 v[56:57], v[186:187], 0, s[12:13]
	v_lshlrev_b32_e32 v187, 6, v56
	s_movk_i32 s3, 0x3f0
	v_lshlrev_b32_e32 v57, 2, v56
	v_and_b32_e32 v122, 63, v56
	v_cmp_gt_u16_e32 vcc, 32, v186
                                        ; implicit-def: $vgpr160_vgpr161
                                        ; implicit-def: $vgpr168_vgpr169
                                        ; implicit-def: $vgpr172_vgpr173
                                        ; implicit-def: $vgpr180_vgpr181
                                        ; implicit-def: $vgpr164_vgpr165
                                        ; implicit-def: $vgpr176_vgpr177
	s_waitcnt vmcnt(14)
	v_mul_f64 v[66:67], v[34:35], v[2:3]
	v_fmac_f64_e32 v[66:67], v[32:33], v[0:1]
	v_mul_f64 v[32:33], v[32:33], v[2:3]
	v_fma_f64 v[68:69], v[34:35], v[0:1], -v[32:33]
	ds_write_b128 v184, v[66:69]
	s_waitcnt vmcnt(11)
	v_mul_f64 v[32:33], v[38:39], v[14:15]
	v_mul_f64 v[34:35], v[36:37], v[14:15]
	v_fmac_f64_e32 v[32:33], v[36:37], v[12:13]
	v_fma_f64 v[34:35], v[38:39], v[12:13], -v[34:35]
	ds_write_b128 v184, v[32:35] offset:7168
	s_waitcnt vmcnt(10)
	v_mul_f64 v[32:33], v[42:43], v[6:7]
	v_mul_f64 v[34:35], v[40:41], v[6:7]
	v_fmac_f64_e32 v[32:33], v[40:41], v[4:5]
	v_fma_f64 v[34:35], v[42:43], v[4:5], -v[34:35]
	ds_write_b128 v184, v[32:35] offset:14336
	;; [unrolled: 6-line block ×7, first 2 shown]
	s_waitcnt lgkmcnt(0)
	s_barrier
	ds_read_b128 v[32:35], v184 offset:14336
	ds_read_b128 v[36:39], v184
	ds_read_b128 v[40:43], v184 offset:3584
	ds_read_b128 v[44:47], v184 offset:7168
	;; [unrolled: 1-line block ×6, first 2 shown]
	s_waitcnt lgkmcnt(6)
	v_add_f64 v[66:67], v[36:37], -v[32:33]
	v_add_f64 v[68:69], v[38:39], -v[34:35]
	v_fma_f64 v[36:37], v[36:37], 2.0, -v[66:67]
	s_waitcnt lgkmcnt(1)
	v_add_f64 v[58:59], v[44:45], -v[58:59]
	v_add_f64 v[60:61], v[46:47], -v[60:61]
	v_fma_f64 v[38:39], v[38:39], 2.0, -v[68:69]
	v_fma_f64 v[32:33], v[44:45], 2.0, -v[58:59]
	;; [unrolled: 1-line block ×3, first 2 shown]
	v_add_f64 v[44:45], v[66:67], -v[60:61]
	v_add_f64 v[46:47], v[68:69], v[58:59]
	v_add_f64 v[32:33], v[36:37], -v[32:33]
	v_add_f64 v[34:35], v[38:39], -v[34:35]
	v_fma_f64 v[58:59], v[66:67], 2.0, -v[44:45]
	v_fma_f64 v[60:61], v[68:69], 2.0, -v[46:47]
	v_add_f64 v[66:67], v[40:41], -v[52:53]
	v_add_f64 v[68:69], v[42:43], -v[54:55]
	s_waitcnt lgkmcnt(0)
	v_add_f64 v[62:63], v[48:49], -v[62:63]
	v_add_f64 v[64:65], v[50:51], -v[64:65]
	v_fma_f64 v[36:37], v[36:37], 2.0, -v[32:33]
	v_fma_f64 v[38:39], v[38:39], 2.0, -v[34:35]
	;; [unrolled: 1-line block ×6, first 2 shown]
	v_add_f64 v[40:41], v[52:53], -v[40:41]
	v_add_f64 v[42:43], v[54:55], -v[42:43]
	s_barrier
	ds_write_b128 v185, v[36:39]
	ds_write_b128 v185, v[58:61] offset:16
	ds_write_b128 v185, v[32:35] offset:32
	;; [unrolled: 1-line block ×3, first 2 shown]
	v_and_b32_e32 v59, 3, v186
	v_fma_f64 v[48:49], v[52:53], 2.0, -v[40:41]
	v_fma_f64 v[50:51], v[54:55], 2.0, -v[42:43]
	v_add_f64 v[52:53], v[66:67], -v[64:65]
	v_add_f64 v[54:55], v[68:69], v[62:63]
	v_mad_u64_u32 v[44:45], s[12:13], v59, 48, s[10:11]
	v_fma_f64 v[62:63], v[66:67], 2.0, -v[52:53]
	v_fma_f64 v[64:65], v[68:69], 2.0, -v[54:55]
	ds_write_b128 v187, v[48:51]
	ds_write_b128 v187, v[62:65] offset:16
	ds_write_b128 v187, v[40:43] offset:32
	;; [unrolled: 1-line block ×3, first 2 shown]
	s_waitcnt lgkmcnt(0)
	s_barrier
	global_load_dwordx4 v[40:43], v[44:45], off
	global_load_dwordx4 v[36:39], v[44:45], off offset:16
	global_load_dwordx4 v[32:35], v[44:45], off offset:32
	ds_read_b128 v[44:47], v184 offset:7168
	ds_read_b128 v[48:51], v184 offset:10752
	ds_read_b128 v[52:55], v184 offset:14336
	ds_read_b128 v[60:63], v184 offset:17920
	ds_read_b128 v[64:67], v184 offset:21504
	ds_read_b128 v[68:71], v184 offset:25088
	v_lshlrev_b32_e32 v58, 2, v186
	s_waitcnt vmcnt(2) lgkmcnt(5)
	v_mul_f64 v[72:73], v[46:47], v[42:43]
	v_fma_f64 v[72:73], v[44:45], v[40:41], -v[72:73]
	v_mul_f64 v[74:75], v[44:45], v[42:43]
	s_waitcnt vmcnt(1) lgkmcnt(3)
	v_mul_f64 v[44:45], v[54:55], v[38:39]
	v_fma_f64 v[76:77], v[52:53], v[36:37], -v[44:45]
	v_mul_f64 v[52:53], v[52:53], v[38:39]
	s_waitcnt vmcnt(0) lgkmcnt(1)
	v_mul_f64 v[44:45], v[66:67], v[34:35]
	v_fmac_f64_e32 v[52:53], v[54:55], v[36:37]
	v_fma_f64 v[54:55], v[64:65], v[32:33], -v[44:45]
	v_mul_f64 v[44:45], v[50:51], v[42:43]
	v_fma_f64 v[78:79], v[48:49], v[40:41], -v[44:45]
	v_mul_f64 v[44:45], v[62:63], v[38:39]
	v_fmac_f64_e32 v[74:75], v[46:47], v[40:41]
	v_fma_f64 v[82:83], v[60:61], v[36:37], -v[44:45]
	ds_read_b128 v[44:47], v184
	v_mul_f64 v[80:81], v[48:49], v[42:43]
	s_waitcnt lgkmcnt(1)
	v_mul_f64 v[48:49], v[70:71], v[34:35]
	v_fmac_f64_e32 v[80:81], v[50:51], v[40:41]
	v_fma_f64 v[86:87], v[68:69], v[32:33], -v[48:49]
	ds_read_b128 v[48:51], v184 offset:3584
	v_mul_f64 v[64:65], v[64:65], v[34:35]
	v_fmac_f64_e32 v[64:65], v[66:67], v[32:33]
	v_mul_f64 v[68:69], v[68:69], v[34:35]
	v_mul_f64 v[84:85], v[60:61], v[38:39]
	v_fmac_f64_e32 v[68:69], v[70:71], v[32:33]
	s_waitcnt lgkmcnt(1)
	v_add_f64 v[70:71], v[46:47], -v[52:53]
	v_add_f64 v[64:65], v[74:75], -v[64:65]
	v_fmac_f64_e32 v[84:85], v[62:63], v[36:37]
	v_add_f64 v[66:67], v[44:45], -v[76:77]
	v_fma_f64 v[60:61], v[46:47], 2.0, -v[70:71]
	v_add_f64 v[62:63], v[72:73], -v[54:55]
	v_fma_f64 v[46:47], v[74:75], 2.0, -v[64:65]
	v_fma_f64 v[52:53], v[44:45], 2.0, -v[66:67]
	;; [unrolled: 1-line block ×3, first 2 shown]
	v_add_f64 v[46:47], v[60:61], -v[46:47]
	s_waitcnt lgkmcnt(0)
	v_add_f64 v[76:77], v[48:49], -v[82:83]
	v_add_f64 v[82:83], v[50:51], -v[84:85]
	;; [unrolled: 1-line block ×4, first 2 shown]
	v_fma_f64 v[54:55], v[60:61], 2.0, -v[46:47]
	v_add_f64 v[60:61], v[66:67], -v[64:65]
	v_add_f64 v[62:63], v[70:71], v[62:63]
	v_fma_f64 v[72:73], v[50:51], 2.0, -v[82:83]
	v_add_f64 v[74:75], v[78:79], -v[86:87]
	v_fma_f64 v[50:51], v[80:81], 2.0, -v[84:85]
	v_and_or_b32 v80, v58, s3, v59
	v_fma_f64 v[52:53], v[52:53], 2.0, -v[44:45]
	v_fma_f64 v[64:65], v[66:67], 2.0, -v[60:61]
	;; [unrolled: 1-line block ×5, first 2 shown]
	v_lshlrev_b32_e32 v189, 4, v80
	s_movk_i32 s3, 0x7f0
	v_add_f64 v[48:49], v[70:71], -v[48:49]
	v_add_f64 v[50:51], v[72:73], -v[50:51]
	s_barrier
	ds_write_b128 v189, v[52:55]
	ds_write_b128 v189, v[64:67] offset:64
	ds_write_b128 v189, v[44:47] offset:128
	;; [unrolled: 1-line block ×3, first 2 shown]
	v_and_or_b32 v44, v57, s3, v59
	v_and_b32_e32 v59, 15, v186
	v_fma_f64 v[68:69], v[70:71], 2.0, -v[48:49]
	v_fma_f64 v[70:71], v[72:73], 2.0, -v[50:51]
	v_add_f64 v[72:73], v[76:77], -v[84:85]
	v_add_f64 v[74:75], v[82:83], v[74:75]
	v_lshlrev_b32_e32 v190, 4, v44
	v_mad_u64_u32 v[60:61], s[12:13], v59, 48, s[10:11]
	v_fma_f64 v[76:77], v[76:77], 2.0, -v[72:73]
	v_fma_f64 v[78:79], v[82:83], 2.0, -v[74:75]
	ds_write_b128 v190, v[68:71]
	ds_write_b128 v190, v[76:79] offset:64
	ds_write_b128 v190, v[48:51] offset:128
	;; [unrolled: 1-line block ×3, first 2 shown]
	s_waitcnt lgkmcnt(0)
	s_barrier
	global_load_dwordx4 v[52:55], v[60:61], off offset:192
	global_load_dwordx4 v[48:51], v[60:61], off offset:208
	;; [unrolled: 1-line block ×3, first 2 shown]
	ds_read_b128 v[60:63], v184 offset:7168
	ds_read_b128 v[64:67], v184 offset:10752
	;; [unrolled: 1-line block ×4, first 2 shown]
	s_movk_i32 s3, 0x3c0
	s_waitcnt vmcnt(2) lgkmcnt(3)
	v_mul_f64 v[76:77], v[62:63], v[54:55]
	v_mul_f64 v[78:79], v[60:61], v[54:55]
	v_fma_f64 v[76:77], v[60:61], v[52:53], -v[76:77]
	v_fmac_f64_e32 v[78:79], v[62:63], v[52:53]
	ds_read_b128 v[60:63], v184 offset:21504
	s_waitcnt vmcnt(1) lgkmcnt(2)
	v_mul_f64 v[80:81], v[70:71], v[50:51]
	v_mul_f64 v[82:83], v[68:69], v[50:51]
	v_fma_f64 v[80:81], v[68:69], v[48:49], -v[80:81]
	v_fmac_f64_e32 v[82:83], v[70:71], v[48:49]
	ds_read_b128 v[68:71], v184 offset:25088
	s_waitcnt vmcnt(0) lgkmcnt(1)
	v_mul_f64 v[84:85], v[62:63], v[46:47]
	v_fma_f64 v[84:85], v[60:61], v[44:45], -v[84:85]
	v_mul_f64 v[86:87], v[60:61], v[46:47]
	v_mul_f64 v[60:61], v[66:67], v[54:55]
	v_fma_f64 v[88:89], v[64:65], v[52:53], -v[60:61]
	v_mul_f64 v[60:61], v[74:75], v[50:51]
	v_fmac_f64_e32 v[86:87], v[62:63], v[44:45]
	v_fma_f64 v[92:93], v[72:73], v[48:49], -v[60:61]
	ds_read_b128 v[60:63], v184
	v_mul_f64 v[90:91], v[64:65], v[54:55]
	v_mul_f64 v[94:95], v[72:73], v[50:51]
	s_waitcnt lgkmcnt(1)
	v_mul_f64 v[64:65], v[70:71], v[46:47]
	v_fmac_f64_e32 v[90:91], v[66:67], v[52:53]
	v_fmac_f64_e32 v[94:95], v[74:75], v[48:49]
	v_fma_f64 v[96:97], v[68:69], v[44:45], -v[64:65]
	ds_read_b128 v[64:67], v184 offset:3584
	v_mul_f64 v[98:99], v[68:69], v[46:47]
	s_waitcnt lgkmcnt(1)
	v_add_f64 v[72:73], v[60:61], -v[80:81]
	v_add_f64 v[74:75], v[62:63], -v[82:83]
	;; [unrolled: 1-line block ×4, first 2 shown]
	v_fmac_f64_e32 v[98:99], v[70:71], v[44:45]
	v_fma_f64 v[68:69], v[60:61], 2.0, -v[72:73]
	v_fma_f64 v[70:71], v[62:63], 2.0, -v[74:75]
	;; [unrolled: 1-line block ×4, first 2 shown]
	v_add_f64 v[60:61], v[68:69], -v[60:61]
	v_add_f64 v[62:63], v[70:71], -v[62:63]
	v_and_or_b32 v76, v58, s3, v59
	v_fma_f64 v[68:69], v[68:69], 2.0, -v[60:61]
	v_fma_f64 v[70:71], v[70:71], 2.0, -v[62:63]
	v_lshlrev_b32_e32 v191, 4, v76
	s_waitcnt lgkmcnt(0)
	s_barrier
	ds_write_b128 v191, v[68:71]
	v_add_f64 v[68:69], v[72:73], -v[82:83]
	v_add_f64 v[70:71], v[74:75], v[80:81]
	v_fma_f64 v[72:73], v[72:73], 2.0, -v[68:69]
	v_fma_f64 v[74:75], v[74:75], 2.0, -v[70:71]
	ds_write_b128 v191, v[72:75] offset:256
	ds_write_b128 v191, v[60:63] offset:512
	v_add_f64 v[76:77], v[64:65], -v[92:93]
	v_add_f64 v[78:79], v[66:67], -v[94:95]
	;; [unrolled: 1-line block ×4, first 2 shown]
	v_fma_f64 v[64:65], v[64:65], 2.0, -v[76:77]
	v_fma_f64 v[66:67], v[66:67], 2.0, -v[78:79]
	v_fma_f64 v[60:61], v[88:89], 2.0, -v[74:75]
	v_fma_f64 v[62:63], v[90:91], 2.0, -v[72:73]
	s_movk_i32 s3, 0x7c0
	v_add_f64 v[60:61], v[64:65], -v[60:61]
	v_add_f64 v[62:63], v[66:67], -v[62:63]
	v_and_or_b32 v59, v57, s3, v59
	v_fma_f64 v[64:65], v[64:65], 2.0, -v[60:61]
	v_fma_f64 v[66:67], v[66:67], 2.0, -v[62:63]
	v_add_f64 v[72:73], v[76:77], -v[72:73]
	v_add_f64 v[74:75], v[78:79], v[74:75]
	v_lshlrev_b32_e32 v192, 4, v59
	v_and_b32_e32 v59, 63, v186
	v_fma_f64 v[76:77], v[76:77], 2.0, -v[72:73]
	v_fma_f64 v[78:79], v[78:79], 2.0, -v[74:75]
	ds_write_b128 v191, v[68:71] offset:768
	ds_write_b128 v192, v[64:67]
	ds_write_b128 v192, v[76:79] offset:256
	ds_write_b128 v192, v[60:63] offset:512
	;; [unrolled: 1-line block ×3, first 2 shown]
	v_mad_u64_u32 v[60:61], s[12:13], v59, 48, s[10:11]
	s_waitcnt lgkmcnt(0)
	s_barrier
	global_load_dwordx4 v[72:75], v[60:61], off offset:960
	global_load_dwordx4 v[76:79], v[60:61], off offset:976
	;; [unrolled: 1-line block ×3, first 2 shown]
	v_mad_u64_u32 v[60:61], s[12:13], v122, 48, s[10:11]
	global_load_dwordx4 v[84:87], v[60:61], off offset:960
	global_load_dwordx4 v[96:99], v[60:61], off offset:976
	;; [unrolled: 1-line block ×3, first 2 shown]
	ds_read_b128 v[60:63], v184 offset:7168
	ds_read_b128 v[64:67], v184 offset:10752
	ds_read_b128 v[68:71], v184 offset:14336
	s_movk_i32 s3, 0x300
	v_and_or_b32 v58, v58, s3, v59
	v_lshlrev_b32_e32 v193, 4, v58
	s_movk_i32 s3, 0x700
	v_and_or_b32 v57, v57, s3, v122
	v_lshlrev_b32_e32 v194, 4, v57
	s_load_dwordx2 s[12:13], s[0:1], 0x38
	s_waitcnt vmcnt(5) lgkmcnt(0)
	v_mul_f64 v[88:89], v[62:63], v[74:75]
	v_fma_f64 v[92:93], v[60:61], v[72:73], -v[88:89]
	ds_read_b128 v[88:91], v184 offset:21504
	v_mul_f64 v[94:95], v[60:61], v[74:75]
	v_fmac_f64_e32 v[94:95], v[62:63], v[72:73]
	ds_read_b128 v[60:63], v184 offset:17920
	s_waitcnt vmcnt(4)
	v_mul_f64 v[104:105], v[70:71], v[78:79]
	v_mul_f64 v[106:107], v[68:69], v[78:79]
	v_fma_f64 v[104:105], v[68:69], v[76:77], -v[104:105]
	v_fmac_f64_e32 v[106:107], v[70:71], v[76:77]
	ds_read_b128 v[68:71], v184 offset:25088
	s_waitcnt vmcnt(3) lgkmcnt(2)
	v_mul_f64 v[108:109], v[90:91], v[82:83]
	v_fma_f64 v[108:109], v[88:89], v[80:81], -v[108:109]
	v_mul_f64 v[88:89], v[88:89], v[82:83]
	v_fmac_f64_e32 v[88:89], v[90:91], v[80:81]
	s_waitcnt vmcnt(2)
	v_mul_f64 v[90:91], v[66:67], v[86:87]
	v_fma_f64 v[110:111], v[64:65], v[84:85], -v[90:91]
	v_mul_f64 v[112:113], v[64:65], v[86:87]
	s_waitcnt vmcnt(1) lgkmcnt(1)
	v_mul_f64 v[64:65], v[62:63], v[98:99]
	v_mul_f64 v[116:117], v[60:61], v[98:99]
	v_fma_f64 v[114:115], v[60:61], v[96:97], -v[64:65]
	v_fmac_f64_e32 v[116:117], v[62:63], v[96:97]
	ds_read_b128 v[60:63], v184
	s_waitcnt vmcnt(0) lgkmcnt(1)
	v_mul_f64 v[64:65], v[70:71], v[102:103]
	v_fmac_f64_e32 v[112:113], v[66:67], v[84:85]
	v_fma_f64 v[118:119], v[68:69], v[100:101], -v[64:65]
	ds_read_b128 v[64:67], v184 offset:3584
	v_mul_f64 v[120:121], v[68:69], v[102:103]
	s_waitcnt lgkmcnt(1)
	v_add_f64 v[90:91], v[60:61], -v[104:105]
	v_add_f64 v[104:105], v[62:63], -v[106:107]
	;; [unrolled: 1-line block ×4, first 2 shown]
	v_fmac_f64_e32 v[120:121], v[70:71], v[100:101]
	v_fma_f64 v[68:69], v[60:61], 2.0, -v[90:91]
	v_fma_f64 v[70:71], v[62:63], 2.0, -v[104:105]
	v_fma_f64 v[60:61], v[92:93], 2.0, -v[106:107]
	v_fma_f64 v[62:63], v[94:95], 2.0, -v[88:89]
	v_add_f64 v[60:61], v[68:69], -v[60:61]
	v_add_f64 v[62:63], v[70:71], -v[62:63]
	v_fma_f64 v[68:69], v[68:69], 2.0, -v[60:61]
	v_fma_f64 v[70:71], v[70:71], 2.0, -v[62:63]
	s_waitcnt lgkmcnt(0)
	s_barrier
	ds_write_b128 v193, v[68:71]
	v_add_f64 v[68:69], v[90:91], -v[88:89]
	v_add_f64 v[70:71], v[104:105], v[106:107]
	v_fma_f64 v[88:89], v[90:91], 2.0, -v[68:69]
	v_fma_f64 v[90:91], v[104:105], 2.0, -v[70:71]
	ds_write_b128 v193, v[88:91] offset:1024
	ds_write_b128 v193, v[60:63] offset:2048
	;; [unrolled: 1-line block ×3, first 2 shown]
	v_add_f64 v[68:69], v[64:65], -v[114:115]
	v_add_f64 v[70:71], v[66:67], -v[116:117]
	v_fma_f64 v[62:63], v[64:65], 2.0, -v[68:69]
	v_fma_f64 v[64:65], v[66:67], 2.0, -v[70:71]
	v_add_f64 v[66:67], v[110:111], -v[118:119]
	v_add_f64 v[88:89], v[112:113], -v[120:121]
	v_fma_f64 v[58:59], v[110:111], 2.0, -v[66:67]
	v_fma_f64 v[60:61], v[112:113], 2.0, -v[88:89]
	;; [unrolled: 4-line block ×3, first 2 shown]
	v_add_f64 v[128:129], v[68:69], -v[88:89]
	v_add_f64 v[130:131], v[70:71], v[66:67]
	ds_write_b128 v194, v[62:65]
	v_fma_f64 v[62:63], v[68:69], 2.0, -v[128:129]
	v_fma_f64 v[64:65], v[70:71], 2.0, -v[130:131]
	ds_write_b128 v194, v[62:65] offset:1024
	ds_write_b128 v194, v[58:61] offset:2048
	;; [unrolled: 1-line block ×3, first 2 shown]
	s_waitcnt lgkmcnt(0)
	s_barrier
	ds_read_b128 v[132:135], v184
	ds_read_b128 v[156:159], v184 offset:4096
	ds_read_b128 v[152:155], v184 offset:8192
	;; [unrolled: 1-line block ×6, first 2 shown]
	s_and_saveexec_b64 s[0:1], vcc
	s_cbranch_execz .LBB0_3
; %bb.2:
	ds_read_b128 v[128:131], v184 offset:3584
	ds_read_b128 v[160:163], v184 offset:7680
	;; [unrolled: 1-line block ×7, first 2 shown]
.LBB0_3:
	s_or_b64 exec, exec, s[0:1]
	s_movk_i32 s3, 0x60
	v_mov_b64_e32 v[58:59], s[10:11]
	v_mad_u64_u32 v[88:89], s[0:1], v186, s3, v[58:59]
	v_and_b32_e32 v56, 0xff, v56
	s_mov_b64 s[10:11], 0x1000
	v_mad_u64_u32 v[90:91], s[0:1], v56, s3, v[58:59]
	v_lshl_add_u64 v[92:93], v[88:89], 0, s[10:11]
	global_load_dwordx4 v[116:119], v[88:89], off offset:4032
	global_load_dwordx4 v[112:115], v[88:89], off offset:4048
	;; [unrolled: 1-line block ×9, first 2 shown]
	v_add_co_u32_e64 v88, s[0:1], s2, v88
	v_lshl_add_u64 v[92:93], v[90:91], 0, s[10:11]
	v_add_co_u32_e64 v196, s[2:3], s2, v90
	v_addc_co_u32_e64 v89, s[0:1], 0, v89, s[0:1]
	global_load_dwordx4 v[92:95], v[92:93], off offset:16
	s_nop 0
	global_load_dwordx4 v[124:127], v[88:89], off
	v_addc_co_u32_e64 v197, s[0:1], 0, v91, s[2:3]
	global_load_dwordx4 v[88:91], v[196:197], off
	s_mov_b32 s14, 0xe976ee23
	s_mov_b32 s2, 0x37e14327
	;; [unrolled: 1-line block ×20, first 2 shown]
	s_waitcnt vmcnt(11) lgkmcnt(5)
	v_mul_f64 v[196:197], v[158:159], v[118:119]
	s_waitcnt vmcnt(10) lgkmcnt(4)
	v_mul_f64 v[202:203], v[152:153], v[114:115]
	;; [unrolled: 2-line block ×3, first 2 shown]
	s_waitcnt vmcnt(7)
	v_mul_f64 v[212:213], v[162:163], v[70:71]
	v_mul_f64 v[200:201], v[154:155], v[114:115]
	;; [unrolled: 1-line block ×5, first 2 shown]
	v_fmac_f64_e32 v[202:203], v[154:155], v[112:113]
	v_fmac_f64_e32 v[210:211], v[146:147], v[104:105]
	s_waitcnt vmcnt(3) lgkmcnt(0)
	v_mul_f64 v[146:147], v[142:143], v[122:123]
	v_fma_f64 v[154:155], v[160:161], v[68:69], -v[212:213]
	v_mul_f64 v[198:199], v[156:157], v[118:119]
	s_waitcnt vmcnt(1)
	v_mul_f64 v[160:161], v[138:139], v[126:127]
	v_mul_f64 v[204:205], v[150:151], v[110:111]
	v_fma_f64 v[156:157], v[156:157], v[116:117], -v[196:197]
	v_fma_f64 v[152:153], v[152:153], v[112:113], -v[200:201]
	v_fmac_f64_e32 v[206:207], v[150:151], v[108:109]
	v_mul_f64 v[150:151], v[140:141], v[122:123]
	v_fmac_f64_e32 v[214:215], v[162:163], v[68:69]
	v_mul_f64 v[162:163], v[136:137], v[126:127]
	v_fma_f64 v[140:141], v[140:141], v[120:121], -v[146:147]
	v_fma_f64 v[136:137], v[136:137], v[124:125], -v[160:161]
	v_mul_f64 v[216:217], v[170:171], v[66:67]
	v_fmac_f64_e32 v[198:199], v[158:159], v[116:117]
	v_fma_f64 v[148:149], v[148:149], v[108:109], -v[204:205]
	v_fma_f64 v[144:145], v[144:145], v[104:105], -v[208:209]
	v_mul_f64 v[158:159], v[178:179], v[94:95]
	s_waitcnt vmcnt(0)
	v_mul_f64 v[212:213], v[164:165], v[90:91]
	v_fmac_f64_e32 v[150:151], v[142:143], v[120:121]
	v_fmac_f64_e32 v[162:163], v[138:139], v[124:125]
	v_add_f64 v[146:147], v[156:157], v[140:141]
	v_add_f64 v[140:141], v[156:157], -v[140:141]
	v_add_f64 v[156:157], v[152:153], v[136:137]
	v_mul_f64 v[218:219], v[168:169], v[66:67]
	v_fma_f64 v[196:197], v[168:169], v[64:65], -v[216:217]
	v_mul_f64 v[168:169], v[166:167], v[90:91]
	v_fma_f64 v[142:143], v[176:177], v[92:93], -v[158:159]
	v_fmac_f64_e32 v[212:213], v[166:167], v[88:89]
	v_add_f64 v[158:159], v[198:199], v[150:151]
	v_add_f64 v[160:161], v[202:203], v[162:163]
	v_add_f64 v[136:137], v[152:153], -v[136:137]
	v_add_f64 v[152:153], v[202:203], -v[162:163]
	v_add_f64 v[162:163], v[148:149], v[144:145]
	v_add_f64 v[144:145], v[144:145], -v[148:149]
	v_add_f64 v[166:167], v[156:157], v[146:147]
	v_mul_f64 v[220:221], v[174:175], v[62:63]
	v_mul_f64 v[222:223], v[172:173], v[62:63]
	v_fmac_f64_e32 v[218:219], v[170:171], v[64:65]
	v_mul_f64 v[208:209], v[176:177], v[94:95]
	v_fma_f64 v[138:139], v[164:165], v[88:89], -v[168:169]
	v_add_f64 v[164:165], v[206:207], v[210:211]
	v_add_f64 v[148:149], v[210:211], -v[206:207]
	v_add_f64 v[168:169], v[160:161], v[158:159]
	v_add_f64 v[170:171], v[156:157], -v[146:147]
	v_add_f64 v[146:147], v[146:147], -v[162:163]
	;; [unrolled: 1-line block ×3, first 2 shown]
	v_add_f64 v[156:157], v[144:145], v[136:137]
	v_add_f64 v[162:163], v[162:163], v[166:167]
	v_mul_f64 v[224:225], v[182:183], v[58:59]
	v_mul_f64 v[226:227], v[180:181], v[58:59]
	v_fma_f64 v[200:201], v[172:173], v[60:61], -v[220:221]
	v_fmac_f64_e32 v[222:223], v[174:175], v[60:61]
	v_fmac_f64_e32 v[208:209], v[178:179], v[92:93]
	v_add_f64 v[150:151], v[198:199], -v[150:151]
	v_add_f64 v[172:173], v[160:161], -v[158:159]
	;; [unrolled: 1-line block ×4, first 2 shown]
	v_add_f64 v[158:159], v[148:149], v[152:153]
	v_add_f64 v[178:179], v[144:145], -v[136:137]
	v_add_f64 v[144:145], v[140:141], -v[144:145]
	;; [unrolled: 1-line block ×3, first 2 shown]
	v_add_f64 v[164:165], v[164:165], v[168:169]
	v_add_f64 v[140:141], v[156:157], v[140:141]
	;; [unrolled: 1-line block ×3, first 2 shown]
	v_fma_f64 v[204:205], v[180:181], v[56:57], -v[224:225]
	v_fmac_f64_e32 v[226:227], v[182:183], v[56:57]
	v_add_f64 v[180:181], v[148:149], -v[152:153]
	v_add_f64 v[148:149], v[150:151], -v[148:149]
	;; [unrolled: 1-line block ×3, first 2 shown]
	v_add_f64 v[150:151], v[158:159], v[150:151]
	v_add_f64 v[158:159], v[134:135], v[164:165]
	v_mul_f64 v[182:183], v[178:179], s[14:15]
	v_mov_b64_e32 v[178:179], v[156:157]
	v_mul_f64 v[132:133], v[146:147], s[2:3]
	v_mul_f64 v[134:135], v[174:175], s[2:3]
	;; [unrolled: 1-line block ×6, first 2 shown]
	v_fmac_f64_e32 v[178:179], s[16:17], v[162:163]
	v_mov_b64_e32 v[162:163], v[158:159]
	v_mul_f64 v[174:175], v[152:153], s[10:11]
	v_fmac_f64_e32 v[162:163], s[16:17], v[164:165]
	v_fma_f64 v[146:147], v[170:171], s[18:19], -v[146:147]
	v_fma_f64 v[164:165], v[172:173], s[18:19], -v[166:167]
	;; [unrolled: 1-line block ×3, first 2 shown]
	v_fmac_f64_e32 v[132:133], s[0:1], v[176:177]
	v_fma_f64 v[170:171], v[172:173], s[20:21], -v[134:135]
	v_fmac_f64_e32 v[134:135], s[0:1], v[160:161]
	v_fma_f64 v[136:137], v[136:137], s[10:11], -v[182:183]
	;; [unrolled: 2-line block ×4, first 2 shown]
	v_fma_f64 v[148:149], v[148:149], s[26:27], -v[174:175]
	v_add_f64 v[132:133], v[132:133], v[178:179]
	v_add_f64 v[134:135], v[134:135], v[162:163]
	;; [unrolled: 1-line block ×6, first 2 shown]
	v_fmac_f64_e32 v[182:183], s[24:25], v[140:141]
	v_fmac_f64_e32 v[180:181], s[24:25], v[150:151]
	v_fmac_f64_e32 v[136:137], s[24:25], v[140:141]
	v_fmac_f64_e32 v[144:145], s[24:25], v[140:141]
	v_fmac_f64_e32 v[152:153], s[24:25], v[150:151]
	v_fmac_f64_e32 v[148:149], s[24:25], v[150:151]
	v_add_f64 v[160:161], v[180:181], v[132:133]
	v_add_f64 v[162:163], v[134:135], -v[182:183]
	v_add_f64 v[166:167], v[178:179], -v[144:145]
	v_add_f64 v[170:171], v[136:137], v[174:175]
	v_add_f64 v[174:175], v[174:175], -v[136:137]
	v_add_f64 v[178:179], v[144:145], v[178:179]
	;; [unrolled: 2-line block ×3, first 2 shown]
	v_add_f64 v[132:133], v[154:155], v[142:143]
	v_add_f64 v[134:135], v[214:215], v[208:209]
	v_add_f64 v[136:137], v[154:155], -v[142:143]
	v_add_f64 v[142:143], v[196:197], v[138:139]
	v_add_f64 v[144:145], v[218:219], v[212:213]
	;; [unrolled: 1-line block ×3, first 2 shown]
	v_add_f64 v[168:169], v[146:147], -v[152:153]
	v_add_f64 v[172:173], v[152:153], v[146:147]
	v_add_f64 v[176:177], v[176:177], -v[148:149]
	v_add_f64 v[140:141], v[214:215], -v[208:209]
	;; [unrolled: 1-line block ×4, first 2 shown]
	v_add_f64 v[148:149], v[200:201], v[204:205]
	v_add_f64 v[150:151], v[222:223], v[226:227]
	v_add_f64 v[152:153], v[204:205], -v[200:201]
	v_add_f64 v[154:155], v[226:227], -v[222:223]
	v_add_f64 v[196:197], v[142:143], v[132:133]
	v_add_f64 v[198:199], v[144:145], v[134:135]
	v_add_f64 v[200:201], v[142:143], -v[132:133]
	v_add_f64 v[202:203], v[144:145], -v[134:135]
	;; [unrolled: 1-line block ×6, first 2 shown]
	v_add_f64 v[204:205], v[152:153], v[138:139]
	v_add_f64 v[206:207], v[154:155], v[146:147]
	v_add_f64 v[208:209], v[152:153], -v[138:139]
	v_add_f64 v[210:211], v[154:155], -v[146:147]
	;; [unrolled: 1-line block ×4, first 2 shown]
	v_add_f64 v[148:149], v[148:149], v[196:197]
	v_add_f64 v[150:151], v[150:151], v[198:199]
	v_add_f64 v[212:213], v[136:137], -v[152:153]
	v_add_f64 v[214:215], v[140:141], -v[154:155]
	v_add_f64 v[136:137], v[204:205], v[136:137]
	v_add_f64 v[140:141], v[206:207], v[140:141]
	;; [unrolled: 1-line block ×4, first 2 shown]
	v_mul_f64 v[128:129], v[132:133], s[2:3]
	v_mul_f64 v[130:131], v[134:135], s[2:3]
	;; [unrolled: 1-line block ×8, first 2 shown]
	v_fma_f64 v[148:149], s[16:17], v[148:149], v[152:153]
	v_fma_f64 v[150:151], s[16:17], v[150:151], v[154:155]
	;; [unrolled: 1-line block ×3, first 2 shown]
	v_fma_f64 v[132:133], v[200:201], s[18:19], -v[132:133]
	v_fma_f64 v[134:135], v[202:203], s[18:19], -v[134:135]
	;; [unrolled: 1-line block ×4, first 2 shown]
	v_fmac_f64_e32 v[130:131], s[0:1], v[144:145]
	v_fma_f64 v[202:203], s[22:23], v[212:213], v[196:197]
	v_fma_f64 v[144:145], v[138:139], s[10:11], -v[196:197]
	v_fma_f64 v[146:147], v[146:147], s[10:11], -v[198:199]
	v_fmac_f64_e32 v[198:199], s[22:23], v[214:215]
	v_fma_f64 v[196:197], v[212:213], s[26:27], -v[204:205]
	v_fma_f64 v[204:205], v[214:215], s[26:27], -v[206:207]
	v_add_f64 v[206:207], v[142:143], v[148:149]
	v_add_f64 v[208:209], v[130:131], v[150:151]
	;; [unrolled: 1-line block ×6, first 2 shown]
	v_fmac_f64_e32 v[202:203], s[24:25], v[136:137]
	v_fmac_f64_e32 v[198:199], s[24:25], v[140:141]
	;; [unrolled: 1-line block ×6, first 2 shown]
	v_add_f64 v[128:129], v[198:199], v[206:207]
	v_add_f64 v[130:131], v[208:209], -v[202:203]
	v_add_f64 v[132:133], v[204:205], v[148:149]
	v_add_f64 v[134:135], v[150:151], -v[196:197]
	v_add_f64 v[136:137], v[142:143], -v[146:147]
	v_add_f64 v[138:139], v[144:145], v[210:211]
	v_add_f64 v[140:141], v[146:147], v[142:143]
	v_add_f64 v[142:143], v[210:211], -v[144:145]
	v_add_f64 v[144:145], v[148:149], -v[204:205]
	v_add_f64 v[146:147], v[196:197], v[150:151]
	v_add_f64 v[148:149], v[206:207], -v[198:199]
	v_add_f64 v[150:151], v[202:203], v[208:209]
	ds_write_b128 v184, v[156:159]
	ds_write_b128 v184, v[160:163] offset:4096
	ds_write_b128 v184, v[164:167] offset:8192
	;; [unrolled: 1-line block ×6, first 2 shown]
	s_and_saveexec_b64 s[0:1], vcc
	s_cbranch_execz .LBB0_5
; %bb.4:
	ds_write_b128 v184, v[152:155] offset:3584
	ds_write_b128 v184, v[128:131] offset:7680
	;; [unrolled: 1-line block ×7, first 2 shown]
.LBB0_5:
	s_or_b64 exec, exec, s[0:1]
	v_lshlrev_b32_e32 v152, 4, v186
	v_mov_b32_e32 v153, 0
	v_lshl_add_u64 v[156:157], s[8:9], 0, v[152:153]
	s_mov_b64 s[0:1], 0x7000
	v_lshl_add_u64 v[170:171], v[156:157], 0, s[0:1]
	s_movk_i32 s0, 0x7000
	v_add_co_u32_e64 v152, s[0:1], s0, v156
	s_waitcnt lgkmcnt(0)
	s_nop 0
	v_addc_co_u32_e64 v153, s[0:1], 0, v157, s[0:1]
	s_mov_b32 s0, 0x8000
	s_nop 0
	v_add_co_u32_e64 v158, s[0:1], s0, v156
	s_barrier
	s_nop 0
	v_addc_co_u32_e64 v159, s[0:1], 0, v157, s[0:1]
	s_mov_b32 s0, 0xa000
	s_nop 0
	v_add_co_u32_e64 v162, s[0:1], s0, v156
	s_nop 1
	v_addc_co_u32_e64 v163, s[0:1], 0, v157, s[0:1]
	s_mov_b32 s0, 0xc000
	s_nop 0
	v_add_co_u32_e64 v166, s[0:1], s0, v156
	global_load_dwordx4 v[152:155], v[152:153], off
	s_nop 0
	v_addc_co_u32_e64 v167, s[0:1], 0, v157, s[0:1]
	s_mov_b32 s0, 0x9000
	s_nop 0
	v_add_co_u32_e64 v174, s[0:1], s0, v156
	global_load_dwordx4 v[158:161], v[158:159], off offset:3072
	s_nop 0
	global_load_dwordx4 v[162:165], v[162:163], off offset:2048
	v_addc_co_u32_e64 v175, s[0:1], 0, v157, s[0:1]
	s_mov_b32 s0, 0xb000
	global_load_dwordx4 v[166:169], v[166:167], off offset:1024
	s_nop 0
	global_load_dwordx4 v[170:173], v[170:171], off offset:3584
	v_add_co_u32_e64 v178, s[0:1], s0, v156
	global_load_dwordx4 v[174:177], v[174:175], off offset:2560
	s_nop 0
	v_addc_co_u32_e64 v179, s[0:1], 0, v157, s[0:1]
	s_mov_b32 s0, 0xd000
	global_load_dwordx4 v[178:181], v[178:179], off offset:1536
	v_add_co_u32_e64 v156, s[0:1], s0, v156
	s_nop 1
	v_addc_co_u32_e64 v157, s[0:1], 0, v157, s[0:1]
	global_load_dwordx4 v[196:199], v[156:157], off offset:512
	ds_read_b128 v[200:203], v184
	ds_read_b128 v[204:207], v184 offset:3584
	ds_read_b128 v[208:211], v184 offset:7168
	;; [unrolled: 1-line block ×7, first 2 shown]
	s_waitcnt vmcnt(7) lgkmcnt(7)
	v_mul_f64 v[182:183], v[202:203], v[154:155]
	v_mul_f64 v[156:157], v[200:201], v[154:155]
	v_fma_f64 v[154:155], v[200:201], v[152:153], -v[182:183]
	v_fmac_f64_e32 v[156:157], v[202:203], v[152:153]
	s_waitcnt vmcnt(6) lgkmcnt(5)
	v_mul_f64 v[232:233], v[210:211], v[160:161]
	v_mul_f64 v[234:235], v[208:209], v[160:161]
	s_waitcnt vmcnt(5) lgkmcnt(3)
	v_mul_f64 v[236:237], v[218:219], v[164:165]
	v_mul_f64 v[160:161], v[216:217], v[164:165]
	;; [unrolled: 3-line block ×3, first 2 shown]
	s_waitcnt vmcnt(3)
	v_mul_f64 v[240:241], v[206:207], v[172:173]
	v_mul_f64 v[168:169], v[204:205], v[172:173]
	s_waitcnt vmcnt(2)
	v_mul_f64 v[172:173], v[214:215], v[176:177]
	v_fma_f64 v[232:233], v[208:209], v[158:159], -v[232:233]
	v_fmac_f64_e32 v[234:235], v[210:211], v[158:159]
	v_fma_f64 v[158:159], v[216:217], v[162:163], -v[236:237]
	v_fmac_f64_e32 v[160:161], v[218:219], v[162:163]
	;; [unrolled: 2-line block ×4, first 2 shown]
	ds_write_b128 v184, v[154:157]
	ds_write_b128 v184, v[232:235] offset:7168
	ds_write_b128 v184, v[158:161] offset:14336
	ds_write_b128 v184, v[162:165] offset:21504
	ds_write_b128 v184, v[166:169] offset:3584
	v_mul_f64 v[154:155], v[212:213], v[176:177]
	v_fma_f64 v[152:153], v[212:213], v[174:175], -v[172:173]
	v_fmac_f64_e32 v[154:155], v[214:215], v[174:175]
	ds_write_b128 v184, v[152:155] offset:10752
	s_waitcnt vmcnt(1)
	v_mul_f64 v[152:153], v[222:223], v[180:181]
	v_mul_f64 v[154:155], v[220:221], v[180:181]
	v_fma_f64 v[152:153], v[220:221], v[178:179], -v[152:153]
	v_fmac_f64_e32 v[154:155], v[222:223], v[178:179]
	ds_write_b128 v184, v[152:155] offset:17920
	s_waitcnt vmcnt(0) lgkmcnt(7)
	v_mul_f64 v[152:153], v[230:231], v[198:199]
	v_mul_f64 v[154:155], v[228:229], v[198:199]
	v_fma_f64 v[152:153], v[228:229], v[196:197], -v[152:153]
	v_fmac_f64_e32 v[154:155], v[230:231], v[196:197]
	ds_write_b128 v184, v[152:155] offset:25088
	s_waitcnt lgkmcnt(0)
	s_barrier
	ds_read_b128 v[152:155], v184 offset:14336
	ds_read_b128 v[156:159], v184
	ds_read_b128 v[160:163], v184 offset:3584
	ds_read_b128 v[164:167], v184 offset:7168
	;; [unrolled: 1-line block ×6, first 2 shown]
	s_waitcnt lgkmcnt(6)
	v_add_f64 v[196:197], v[156:157], -v[152:153]
	v_add_f64 v[198:199], v[158:159], -v[154:155]
	v_fma_f64 v[156:157], v[156:157], 2.0, -v[196:197]
	s_waitcnt lgkmcnt(1)
	v_add_f64 v[176:177], v[164:165], -v[176:177]
	v_add_f64 v[178:179], v[166:167], -v[178:179]
	v_fma_f64 v[152:153], v[164:165], 2.0, -v[176:177]
	v_fma_f64 v[154:155], v[166:167], 2.0, -v[178:179]
	v_add_f64 v[164:165], v[196:197], v[178:179]
	v_add_f64 v[166:167], v[198:199], -v[176:177]
	v_fma_f64 v[158:159], v[158:159], 2.0, -v[198:199]
	v_fma_f64 v[176:177], v[196:197], 2.0, -v[164:165]
	;; [unrolled: 1-line block ×3, first 2 shown]
	v_add_f64 v[196:197], v[160:161], -v[172:173]
	v_add_f64 v[198:199], v[162:163], -v[174:175]
	s_waitcnt lgkmcnt(0)
	v_add_f64 v[180:181], v[168:169], -v[180:181]
	v_add_f64 v[182:183], v[170:171], -v[182:183]
	v_fma_f64 v[172:173], v[160:161], 2.0, -v[196:197]
	v_fma_f64 v[174:175], v[162:163], 2.0, -v[198:199]
	;; [unrolled: 1-line block ×4, first 2 shown]
	v_add_f64 v[160:161], v[172:173], -v[160:161]
	v_add_f64 v[162:163], v[174:175], -v[162:163]
	;; [unrolled: 1-line block ×4, first 2 shown]
	v_fma_f64 v[168:169], v[172:173], 2.0, -v[160:161]
	v_fma_f64 v[170:171], v[174:175], 2.0, -v[162:163]
	v_add_f64 v[172:173], v[196:197], v[182:183]
	v_add_f64 v[174:175], v[198:199], -v[180:181]
	v_fma_f64 v[156:157], v[156:157], 2.0, -v[152:153]
	v_fma_f64 v[158:159], v[158:159], 2.0, -v[154:155]
	;; [unrolled: 1-line block ×4, first 2 shown]
	s_barrier
	ds_write_b128 v185, v[156:159]
	ds_write_b128 v185, v[176:179] offset:16
	ds_write_b128 v185, v[152:155] offset:32
	;; [unrolled: 1-line block ×3, first 2 shown]
	ds_write_b128 v187, v[168:171]
	ds_write_b128 v187, v[180:183] offset:16
	ds_write_b128 v187, v[160:163] offset:32
	;; [unrolled: 1-line block ×3, first 2 shown]
	s_waitcnt lgkmcnt(0)
	s_barrier
	ds_read_b128 v[152:155], v184
	ds_read_b128 v[156:159], v184 offset:3584
	ds_read_b128 v[160:163], v184 offset:7168
	;; [unrolled: 1-line block ×7, first 2 shown]
	s_waitcnt lgkmcnt(5)
	v_mul_f64 v[196:197], v[42:43], v[162:163]
	v_fmac_f64_e32 v[196:197], v[40:41], v[160:161]
	v_mul_f64 v[160:161], v[42:43], v[160:161]
	v_fma_f64 v[160:161], v[40:41], v[162:163], -v[160:161]
	s_waitcnt lgkmcnt(3)
	v_mul_f64 v[162:163], v[38:39], v[170:171]
	v_fmac_f64_e32 v[162:163], v[36:37], v[168:169]
	v_mul_f64 v[168:169], v[38:39], v[168:169]
	v_fma_f64 v[168:169], v[36:37], v[170:171], -v[168:169]
	;; [unrolled: 5-line block ×3, first 2 shown]
	v_mul_f64 v[178:179], v[42:43], v[166:167]
	v_mul_f64 v[42:43], v[42:43], v[164:165]
	v_fmac_f64_e32 v[178:179], v[40:41], v[164:165]
	v_fma_f64 v[164:165], v[40:41], v[166:167], -v[42:43]
	v_mul_f64 v[166:167], v[38:39], v[174:175]
	v_mul_f64 v[38:39], v[38:39], v[172:173]
	v_fmac_f64_e32 v[166:167], v[36:37], v[172:173]
	v_fma_f64 v[172:173], v[36:37], v[174:175], -v[38:39]
	s_waitcnt lgkmcnt(0)
	v_mul_f64 v[174:175], v[34:35], v[182:183]
	v_mul_f64 v[34:35], v[34:35], v[180:181]
	v_add_f64 v[168:169], v[154:155], -v[168:169]
	v_add_f64 v[42:43], v[196:197], -v[170:171]
	v_fmac_f64_e32 v[174:175], v[32:33], v[180:181]
	v_fma_f64 v[180:181], v[32:33], v[182:183], -v[34:35]
	v_add_f64 v[162:163], v[152:153], -v[162:163]
	v_add_f64 v[40:41], v[160:161], -v[176:177]
	v_fma_f64 v[32:33], v[196:197], 2.0, -v[42:43]
	v_add_f64 v[42:43], v[168:169], -v[42:43]
	v_fma_f64 v[38:39], v[154:155], 2.0, -v[168:169]
	v_fma_f64 v[34:35], v[160:161], 2.0, -v[40:41]
	v_add_f64 v[40:41], v[162:163], v[40:41]
	v_fma_f64 v[154:155], v[168:169], 2.0, -v[42:43]
	v_add_f64 v[168:169], v[156:157], -v[166:167]
	v_add_f64 v[170:171], v[158:159], -v[172:173]
	;; [unrolled: 1-line block ×4, first 2 shown]
	v_fma_f64 v[36:37], v[152:153], 2.0, -v[162:163]
	v_fma_f64 v[152:153], v[162:163], 2.0, -v[40:41]
	;; [unrolled: 1-line block ×6, first 2 shown]
	v_add_f64 v[32:33], v[36:37], -v[32:33]
	v_add_f64 v[34:35], v[38:39], -v[34:35]
	v_add_f64 v[156:157], v[160:161], -v[156:157]
	v_add_f64 v[158:159], v[162:163], -v[158:159]
	v_add_f64 v[164:165], v[168:169], v[172:173]
	v_add_f64 v[166:167], v[170:171], -v[166:167]
	v_fma_f64 v[36:37], v[36:37], 2.0, -v[32:33]
	v_fma_f64 v[38:39], v[38:39], 2.0, -v[34:35]
	;; [unrolled: 1-line block ×6, first 2 shown]
	s_barrier
	ds_write_b128 v189, v[36:39]
	ds_write_b128 v189, v[152:155] offset:64
	ds_write_b128 v189, v[32:35] offset:128
	ds_write_b128 v189, v[40:43] offset:192
	ds_write_b128 v190, v[160:163]
	ds_write_b128 v190, v[168:171] offset:64
	ds_write_b128 v190, v[156:159] offset:128
	;; [unrolled: 1-line block ×3, first 2 shown]
	s_waitcnt lgkmcnt(0)
	s_barrier
	ds_read_b128 v[32:35], v184
	ds_read_b128 v[36:39], v184 offset:3584
	ds_read_b128 v[40:43], v184 offset:7168
	;; [unrolled: 1-line block ×7, first 2 shown]
	s_waitcnt lgkmcnt(5)
	v_mul_f64 v[172:173], v[54:55], v[42:43]
	v_fmac_f64_e32 v[172:173], v[52:53], v[40:41]
	v_mul_f64 v[40:41], v[54:55], v[40:41]
	v_fma_f64 v[40:41], v[52:53], v[42:43], -v[40:41]
	s_waitcnt lgkmcnt(3)
	v_mul_f64 v[42:43], v[50:51], v[158:159]
	v_fmac_f64_e32 v[42:43], v[48:49], v[156:157]
	v_mul_f64 v[156:157], v[50:51], v[156:157]
	v_fma_f64 v[156:157], v[48:49], v[158:159], -v[156:157]
	;; [unrolled: 5-line block ×3, first 2 shown]
	v_mul_f64 v[166:167], v[54:55], v[154:155]
	v_mul_f64 v[54:55], v[54:55], v[152:153]
	v_fmac_f64_e32 v[166:167], v[52:53], v[152:153]
	v_fma_f64 v[52:53], v[52:53], v[154:155], -v[54:55]
	v_mul_f64 v[54:55], v[50:51], v[162:163]
	v_mul_f64 v[50:51], v[50:51], v[160:161]
	s_waitcnt lgkmcnt(0)
	v_mul_f64 v[154:155], v[46:47], v[170:171]
	v_mul_f64 v[46:47], v[46:47], v[168:169]
	v_fmac_f64_e32 v[54:55], v[48:49], v[160:161]
	v_fma_f64 v[152:153], v[48:49], v[162:163], -v[50:51]
	v_fma_f64 v[160:161], v[44:45], v[170:171], -v[46:47]
	v_add_f64 v[48:49], v[32:33], -v[42:43]
	v_add_f64 v[50:51], v[34:35], -v[156:157]
	;; [unrolled: 1-line block ×4, first 2 shown]
	v_fmac_f64_e32 v[154:155], v[44:45], v[168:169]
	v_fma_f64 v[42:43], v[32:33], 2.0, -v[48:49]
	v_fma_f64 v[44:45], v[34:35], 2.0, -v[50:51]
	;; [unrolled: 1-line block ×4, first 2 shown]
	v_add_f64 v[32:33], v[42:43], -v[32:33]
	v_add_f64 v[34:35], v[44:45], -v[34:35]
	v_fma_f64 v[40:41], v[42:43], 2.0, -v[32:33]
	v_fma_f64 v[42:43], v[44:45], 2.0, -v[34:35]
	v_add_f64 v[44:45], v[48:49], v[156:157]
	v_add_f64 v[156:157], v[36:37], -v[54:55]
	v_add_f64 v[158:159], v[38:39], -v[152:153]
	;; [unrolled: 1-line block ×4, first 2 shown]
	v_fma_f64 v[54:55], v[36:37], 2.0, -v[156:157]
	v_fma_f64 v[152:153], v[38:39], 2.0, -v[158:159]
	;; [unrolled: 1-line block ×4, first 2 shown]
	v_add_f64 v[36:37], v[54:55], -v[36:37]
	v_add_f64 v[38:39], v[152:153], -v[38:39]
	;; [unrolled: 1-line block ×3, first 2 shown]
	v_fma_f64 v[52:53], v[54:55], 2.0, -v[36:37]
	v_fma_f64 v[54:55], v[152:153], 2.0, -v[38:39]
	v_add_f64 v[152:153], v[156:157], v[160:161]
	v_add_f64 v[154:155], v[158:159], -v[154:155]
	v_fma_f64 v[48:49], v[48:49], 2.0, -v[44:45]
	v_fma_f64 v[50:51], v[50:51], 2.0, -v[46:47]
	;; [unrolled: 1-line block ×4, first 2 shown]
	s_barrier
	ds_write_b128 v191, v[40:43]
	ds_write_b128 v191, v[48:51] offset:256
	ds_write_b128 v191, v[32:35] offset:512
	;; [unrolled: 1-line block ×3, first 2 shown]
	ds_write_b128 v192, v[52:55]
	ds_write_b128 v192, v[156:159] offset:256
	ds_write_b128 v192, v[36:39] offset:512
	;; [unrolled: 1-line block ×3, first 2 shown]
	s_waitcnt lgkmcnt(0)
	s_barrier
	ds_read_b128 v[32:35], v184
	ds_read_b128 v[36:39], v184 offset:3584
	ds_read_b128 v[40:43], v184 offset:7168
	;; [unrolled: 1-line block ×7, first 2 shown]
	s_waitcnt lgkmcnt(5)
	v_mul_f64 v[160:161], v[74:75], v[42:43]
	v_fmac_f64_e32 v[160:161], v[72:73], v[40:41]
	v_mul_f64 v[40:41], v[74:75], v[40:41]
	v_fma_f64 v[40:41], v[72:73], v[42:43], -v[40:41]
	s_waitcnt lgkmcnt(3)
	v_mul_f64 v[42:43], v[78:79], v[50:51]
	v_fmac_f64_e32 v[42:43], v[76:77], v[48:49]
	v_mul_f64 v[48:49], v[78:79], v[48:49]
	v_mul_f64 v[74:75], v[86:87], v[46:47]
	v_fma_f64 v[48:49], v[76:77], v[50:51], -v[48:49]
	s_waitcnt lgkmcnt(1)
	v_mul_f64 v[50:51], v[82:83], v[154:155]
	v_mul_f64 v[72:73], v[82:83], v[152:153]
	v_fmac_f64_e32 v[74:75], v[84:85], v[44:45]
	v_mul_f64 v[44:45], v[86:87], v[44:45]
	v_fmac_f64_e32 v[50:51], v[80:81], v[152:153]
	v_fma_f64 v[72:73], v[80:81], v[154:155], -v[72:73]
	v_fma_f64 v[76:77], v[84:85], v[46:47], -v[44:45]
	v_mul_f64 v[78:79], v[98:99], v[54:55]
	v_mul_f64 v[44:45], v[98:99], v[52:53]
	v_fmac_f64_e32 v[78:79], v[96:97], v[52:53]
	v_fma_f64 v[80:81], v[96:97], v[54:55], -v[44:45]
	s_waitcnt lgkmcnt(0)
	v_mul_f64 v[82:83], v[102:103], v[158:159]
	v_mul_f64 v[44:45], v[102:103], v[156:157]
	v_add_f64 v[52:53], v[32:33], -v[42:43]
	v_add_f64 v[54:55], v[34:35], -v[48:49]
	v_add_f64 v[50:51], v[160:161], -v[50:51]
	v_add_f64 v[48:49], v[40:41], -v[72:73]
	v_fmac_f64_e32 v[82:83], v[100:101], v[156:157]
	v_fma_f64 v[84:85], v[100:101], v[158:159], -v[44:45]
	v_fma_f64 v[32:33], v[32:33], 2.0, -v[52:53]
	v_fma_f64 v[34:35], v[34:35], 2.0, -v[54:55]
	;; [unrolled: 1-line block ×4, first 2 shown]
	v_add_f64 v[40:41], v[32:33], -v[42:43]
	v_add_f64 v[42:43], v[34:35], -v[44:45]
	v_add_f64 v[78:79], v[36:37], -v[78:79]
	v_add_f64 v[80:81], v[38:39], -v[80:81]
	v_add_f64 v[82:83], v[74:75], -v[82:83]
	v_add_f64 v[84:85], v[76:77], -v[84:85]
	v_fma_f64 v[44:45], v[32:33], 2.0, -v[40:41]
	v_fma_f64 v[46:47], v[34:35], 2.0, -v[42:43]
	;; [unrolled: 1-line block ×6, first 2 shown]
	v_add_f64 v[36:37], v[32:33], -v[36:37]
	v_add_f64 v[38:39], v[34:35], -v[38:39]
	v_add_f64 v[48:49], v[52:53], v[48:49]
	v_add_f64 v[50:51], v[54:55], -v[50:51]
	v_fma_f64 v[72:73], v[32:33], 2.0, -v[36:37]
	v_fma_f64 v[74:75], v[34:35], 2.0, -v[38:39]
	v_add_f64 v[32:33], v[78:79], v[84:85]
	v_add_f64 v[34:35], v[80:81], -v[82:83]
	v_fma_f64 v[52:53], v[52:53], 2.0, -v[48:49]
	v_fma_f64 v[54:55], v[54:55], 2.0, -v[50:51]
	;; [unrolled: 1-line block ×4, first 2 shown]
	s_barrier
	ds_write_b128 v193, v[44:47]
	ds_write_b128 v193, v[52:55] offset:1024
	ds_write_b128 v193, v[40:43] offset:2048
	;; [unrolled: 1-line block ×3, first 2 shown]
	ds_write_b128 v194, v[72:75]
	ds_write_b128 v194, v[76:79] offset:1024
	ds_write_b128 v194, v[36:39] offset:2048
	;; [unrolled: 1-line block ×3, first 2 shown]
	s_waitcnt lgkmcnt(0)
	s_barrier
	ds_read_b128 v[36:39], v184
	ds_read_b128 v[76:79], v184 offset:4096
	ds_read_b128 v[72:75], v184 offset:8192
	;; [unrolled: 1-line block ×6, first 2 shown]
	s_and_saveexec_b64 s[0:1], vcc
	s_cbranch_execz .LBB0_7
; %bb.6:
	ds_read_b128 v[32:35], v184 offset:3584
	ds_read_b128 v[128:131], v184 offset:7680
	;; [unrolled: 1-line block ×7, first 2 shown]
.LBB0_7:
	s_or_b64 exec, exec, s[0:1]
	s_waitcnt lgkmcnt(5)
	v_mul_f64 v[80:81], v[118:119], v[78:79]
	v_fmac_f64_e32 v[80:81], v[116:117], v[76:77]
	v_mul_f64 v[76:77], v[118:119], v[76:77]
	v_fma_f64 v[76:77], v[116:117], v[78:79], -v[76:77]
	s_waitcnt lgkmcnt(4)
	v_mul_f64 v[78:79], v[114:115], v[74:75]
	v_fmac_f64_e32 v[78:79], v[112:113], v[72:73]
	v_mul_f64 v[72:73], v[114:115], v[72:73]
	v_fma_f64 v[72:73], v[112:113], v[74:75], -v[72:73]
	;; [unrolled: 5-line block ×6, first 2 shown]
	v_add_f64 v[42:43], v[80:81], v[46:47]
	v_add_f64 v[82:83], v[76:77], v[40:41]
	v_add_f64 v[40:41], v[76:77], -v[40:41]
	v_add_f64 v[76:77], v[78:79], v[50:51]
	v_add_f64 v[46:47], v[80:81], -v[46:47]
	;; [unrolled: 2-line block ×3, first 2 shown]
	v_add_f64 v[44:45], v[72:73], -v[44:45]
	v_add_f64 v[72:73], v[74:75], v[54:55]
	v_add_f64 v[78:79], v[52:53], v[48:49]
	v_add_f64 v[48:49], v[48:49], -v[52:53]
	v_add_f64 v[52:53], v[76:77], v[42:43]
	v_add_f64 v[54:55], v[54:55], -v[74:75]
	v_add_f64 v[74:75], v[80:81], v[82:83]
	v_add_f64 v[52:53], v[72:73], v[52:53]
	v_add_f64 v[84:85], v[76:77], -v[42:43]
	v_add_f64 v[42:43], v[42:43], -v[72:73]
	;; [unrolled: 1-line block ×3, first 2 shown]
	v_add_f64 v[72:73], v[78:79], v[74:75]
	v_add_f64 v[36:37], v[36:37], v[52:53]
	s_mov_b32 s8, 0x37e14327
	s_mov_b32 s10, 0x36b3c0b5
	;; [unrolled: 1-line block ×5, first 2 shown]
	v_add_f64 v[86:87], v[80:81], -v[82:83]
	v_add_f64 v[82:83], v[82:83], -v[78:79]
	;; [unrolled: 1-line block ×3, first 2 shown]
	v_add_f64 v[96:97], v[54:55], v[50:51]
	v_add_f64 v[98:99], v[48:49], v[44:45]
	v_add_f64 v[100:101], v[54:55], -v[50:51]
	v_add_f64 v[102:103], v[48:49], -v[44:45]
	;; [unrolled: 1-line block ×4, first 2 shown]
	v_add_f64 v[38:39], v[38:39], v[72:73]
	s_mov_b32 s9, 0x3fe948f6
	s_mov_b32 s11, 0x3fac98ee
	s_mov_b32 s15, 0x3fe11646
	s_mov_b32 s1, 0xbfebfeb5
	s_mov_b32 s23, 0xbff2aaaa
	v_mov_b64_e32 v[104:105], v[36:37]
	s_mov_b32 s2, 0x5476071b
	s_mov_b32 s24, 0xb247c609
	v_add_f64 v[54:55], v[46:47], -v[54:55]
	v_add_f64 v[48:49], v[40:41], -v[48:49]
	v_add_f64 v[46:47], v[96:97], v[46:47]
	v_add_f64 v[40:41], v[98:99], v[40:41]
	v_mul_f64 v[42:43], v[42:43], s[8:9]
	v_mul_f64 v[74:75], v[82:83], s[8:9]
	;; [unrolled: 1-line block ×8, first 2 shown]
	v_fmac_f64_e32 v[104:105], s[22:23], v[52:53]
	v_mov_b64_e32 v[52:53], v[38:39]
	s_mov_b32 s3, 0x3fe77f67
	s_mov_b32 s17, 0xbfe77f67
	;; [unrolled: 1-line block ×7, first 2 shown]
	v_fmac_f64_e32 v[52:53], s[22:23], v[72:73]
	v_fma_f64 v[72:73], v[84:85], s[2:3], -v[78:79]
	v_fma_f64 v[78:79], v[86:87], s[2:3], -v[82:83]
	;; [unrolled: 1-line block ×3, first 2 shown]
	v_fmac_f64_e32 v[42:43], s[10:11], v[76:77]
	v_fma_f64 v[76:77], v[86:87], s[16:17], -v[74:75]
	v_fmac_f64_e32 v[74:75], s[10:11], v[80:81]
	v_fma_f64 v[80:81], v[50:51], s[0:1], -v[96:97]
	;; [unrolled: 2-line block ×4, first 2 shown]
	v_fma_f64 v[100:101], v[48:49], s[20:21], -v[102:103]
	s_mov_b32 s19, 0xbfdc38aa
	v_add_f64 v[102:103], v[42:43], v[104:105]
	v_add_f64 v[106:107], v[74:75], v[52:53]
	;; [unrolled: 1-line block ×6, first 2 shown]
	v_fmac_f64_e32 v[96:97], s[18:19], v[46:47]
	v_fmac_f64_e32 v[98:99], s[18:19], v[40:41]
	;; [unrolled: 1-line block ×6, first 2 shown]
	v_add_f64 v[40:41], v[98:99], v[102:103]
	v_add_f64 v[42:43], v[106:107], -v[96:97]
	v_add_f64 v[44:45], v[100:101], v[74:75]
	v_add_f64 v[46:47], v[76:77], -v[86:87]
	v_add_f64 v[48:49], v[54:55], -v[84:85]
	v_add_f64 v[50:51], v[80:81], v[72:73]
	v_add_f64 v[52:53], v[84:85], v[54:55]
	v_add_f64 v[54:55], v[72:73], -v[80:81]
	v_add_f64 v[72:73], v[74:75], -v[100:101]
	v_add_f64 v[74:75], v[86:87], v[76:77]
	v_add_f64 v[76:77], v[102:103], -v[98:99]
	v_add_f64 v[78:79], v[96:97], v[106:107]
	ds_write_b128 v184, v[36:39]
	ds_write_b128 v184, v[40:43] offset:4096
	ds_write_b128 v184, v[44:47] offset:8192
	;; [unrolled: 1-line block ×6, first 2 shown]
	s_and_saveexec_b64 s[26:27], vcc
	s_cbranch_execz .LBB0_9
; %bb.8:
	v_mul_f64 v[36:37], v[70:71], v[130:131]
	v_mul_f64 v[40:41], v[94:95], v[150:151]
	;; [unrolled: 1-line block ×6, first 2 shown]
	v_fmac_f64_e32 v[36:37], v[68:69], v[128:129]
	v_fmac_f64_e32 v[40:41], v[92:93], v[148:149]
	;; [unrolled: 1-line block ×6, first 2 shown]
	v_add_f64 v[42:43], v[36:37], -v[40:41]
	v_add_f64 v[38:39], v[44:45], -v[46:47]
	;; [unrolled: 1-line block ×5, first 2 shown]
	v_add_f64 v[38:39], v[38:39], v[54:55]
	v_add_f64 v[76:77], v[38:39], v[42:43]
	v_mul_f64 v[38:39], v[94:95], v[148:149]
	v_fma_f64 v[78:79], v[92:93], v[150:151], -v[38:39]
	v_mul_f64 v[38:39], v[70:71], v[128:129]
	v_fma_f64 v[68:69], v[68:69], v[130:131], -v[38:39]
	v_mul_f64 v[38:39], v[90:91], v[144:145]
	v_add_f64 v[40:41], v[36:37], v[40:41]
	v_add_f64 v[50:51], v[50:51], v[52:53]
	v_fma_f64 v[80:81], v[88:89], v[146:147], -v[38:39]
	v_mul_f64 v[38:39], v[66:67], v[132:133]
	v_add_f64 v[36:37], v[50:51], v[40:41]
	v_add_f64 v[44:45], v[46:47], v[44:45]
	v_fma_f64 v[64:65], v[64:65], v[134:135], -v[38:39]
	v_mul_f64 v[62:63], v[62:63], v[136:137]
	v_mul_f64 v[58:59], v[58:59], v[140:141]
	v_add_f64 v[36:37], v[44:45], v[36:37]
	v_add_f64 v[70:71], v[68:69], v[78:79]
	;; [unrolled: 1-line block ×3, first 2 shown]
	v_fma_f64 v[60:61], v[60:61], v[138:139], -v[62:63]
	v_fma_f64 v[56:57], v[56:57], v[142:143], -v[58:59]
	v_add_f64 v[32:33], v[32:33], v[36:37]
	v_add_f64 v[38:39], v[66:67], v[70:71]
	;; [unrolled: 1-line block ×3, first 2 shown]
	v_mov_b64_e32 v[52:53], v[32:33]
	v_add_f64 v[38:39], v[58:59], v[38:39]
	v_fmac_f64_e32 v[52:53], s[22:23], v[36:37]
	v_add_f64 v[36:37], v[40:41], -v[44:45]
	v_add_f64 v[34:35], v[34:35], v[38:39]
	v_mul_f64 v[46:47], v[36:37], s[8:9]
	v_add_f64 v[36:37], v[44:45], -v[50:51]
	v_mov_b64_e32 v[62:63], v[34:35]
	v_mul_f64 v[44:45], v[36:37], s[10:11]
	v_fma_f64 v[36:37], s[10:11], v[36:37], v[46:47]
	v_fmac_f64_e32 v[62:63], s[22:23], v[38:39]
	v_add_f64 v[38:39], v[70:71], -v[58:59]
	v_add_f64 v[86:87], v[36:37], v[52:53]
	v_add_f64 v[68:69], v[68:69], -v[78:79]
	v_add_f64 v[36:37], v[56:57], -v[60:61]
	;; [unrolled: 1-line block ×5, first 2 shown]
	v_mul_f64 v[72:73], v[72:73], s[14:15]
	v_mul_f64 v[82:83], v[38:39], s[8:9]
	v_add_f64 v[38:39], v[58:59], -v[66:67]
	v_add_f64 v[56:57], v[68:69], -v[36:37]
	;; [unrolled: 1-line block ×3, first 2 shown]
	v_add_f64 v[36:37], v[36:37], v[60:61]
	v_mul_f64 v[42:43], v[54:55], s[0:1]
	v_fma_f64 v[40:41], v[50:51], s[16:17], -v[46:47]
	v_add_f64 v[60:61], v[60:61], -v[68:69]
	v_fma_f64 v[74:75], s[24:25], v[48:49], v[72:73]
	v_mul_f64 v[58:59], v[38:39], s[10:11]
	v_mul_f64 v[64:65], v[64:65], s[14:15]
	v_fma_f64 v[88:89], v[48:49], s[20:21], -v[42:43]
	v_add_f64 v[48:49], v[66:67], -v[70:71]
	v_add_f64 v[70:71], v[40:41], v[52:53]
	v_mul_f64 v[40:41], v[60:61], s[0:1]
	v_fma_f64 v[38:39], s[10:11], v[38:39], v[82:83]
	v_fma_f64 v[78:79], s[24:25], v[56:57], v[64:65]
	v_add_f64 v[80:81], v[36:37], v[68:69]
	v_fma_f64 v[42:43], v[48:49], s[16:17], -v[82:83]
	v_fma_f64 v[56:57], v[56:57], s[20:21], -v[40:41]
	;; [unrolled: 1-line block ×6, first 2 shown]
	v_fmac_f64_e32 v[74:75], s[18:19], v[76:77]
	v_add_f64 v[84:85], v[38:39], v[62:63]
	v_fmac_f64_e32 v[78:79], s[18:19], v[80:81]
	v_fmac_f64_e32 v[88:89], s[18:19], v[76:77]
	v_add_f64 v[66:67], v[42:43], v[62:63]
	v_fmac_f64_e32 v[56:57], s[18:19], v[80:81]
	v_add_f64 v[48:49], v[46:47], v[62:63]
	;; [unrolled: 2-line block ×4, first 2 shown]
	v_add_f64 v[36:37], v[86:87], -v[78:79]
	v_add_f64 v[42:43], v[88:89], v[66:67]
	v_add_f64 v[40:41], v[70:71], -v[56:57]
	v_add_f64 v[46:47], v[48:49], -v[54:55]
	v_add_f64 v[44:45], v[58:59], v[52:53]
	v_add_f64 v[50:51], v[54:55], v[48:49]
	v_add_f64 v[48:49], v[52:53], -v[58:59]
	v_add_f64 v[54:55], v[66:67], -v[88:89]
	v_add_f64 v[52:53], v[56:57], v[70:71]
	v_add_f64 v[58:59], v[84:85], -v[74:75]
	v_add_f64 v[56:57], v[78:79], v[86:87]
	ds_write_b128 v184, v[32:35] offset:3584
	ds_write_b128 v184, v[56:59] offset:7680
	;; [unrolled: 1-line block ×7, first 2 shown]
.LBB0_9:
	s_or_b64 exec, exec, s[26:27]
	s_waitcnt lgkmcnt(0)
	s_barrier
	ds_read_b128 v[32:35], v184
	v_mad_u64_u32 v[46:47], s[0:1], s6, v188, 0
	v_mov_b32_e32 v36, v47
	v_mad_u64_u32 v[36:37], s[0:1], s7, v188, v[36:37]
	v_mov_b32_e32 v47, v36
	ds_read_b128 v[36:39], v184 offset:3584
	s_waitcnt lgkmcnt(1)
	v_mul_f64 v[40:41], v[2:3], v[34:35]
	s_mov_b32 s0, 0x92492492
	v_mul_f64 v[2:3], v[2:3], v[32:33]
	v_fmac_f64_e32 v[40:41], v[0:1], v[32:33]
	s_mov_b32 s1, 0x3f424924
	v_fma_f64 v[0:1], v[0:1], v[34:35], -v[2:3]
	v_mad_u64_u32 v[32:33], s[2:3], s4, v186, 0
	v_mul_f64 v[42:43], v[0:1], s[0:1]
	v_mov_b32_e32 v0, v33
	v_mad_u64_u32 v[0:1], s[2:3], s5, v186, v[0:1]
	v_mov_b32_e32 v33, v0
	ds_read_b128 v[0:3], v184 offset:7168
	v_mov_b32_e32 v44, s12
	v_mov_b32_e32 v45, s13
	v_lshl_add_u64 v[34:35], v[46:47], 4, v[44:45]
	v_mul_f64 v[40:41], v[40:41], s[0:1]
	v_lshl_add_u64 v[44:45], v[32:33], 4, v[34:35]
	ds_read_b128 v[32:35], v184 offset:10752
	global_store_dwordx4 v[44:45], v[40:43], off
	v_mov_b32_e32 v46, 0x1c00
	v_mad_u64_u32 v[44:45], s[2:3], s4, v46, v[44:45]
	s_waitcnt lgkmcnt(1)
	v_mul_f64 v[40:41], v[14:15], v[2:3]
	v_fmac_f64_e32 v[40:41], v[12:13], v[0:1]
	v_mul_f64 v[0:1], v[14:15], v[0:1]
	v_fma_f64 v[0:1], v[12:13], v[2:3], -v[0:1]
	v_mul_f64 v[42:43], v[0:1], s[0:1]
	ds_read_b128 v[0:3], v184 offset:14336
	ds_read_b128 v[12:15], v184 offset:17920
	s_mul_i32 s6, s5, 0x1c00
	v_mul_f64 v[40:41], v[40:41], s[0:1]
	v_add_u32_e32 v45, s6, v45
	global_store_dwordx4 v[44:45], v[40:43], off
	v_mad_u64_u32 v[44:45], s[2:3], s4, v46, v[44:45]
	s_waitcnt lgkmcnt(1)
	v_mul_f64 v[40:41], v[6:7], v[2:3]
	v_fmac_f64_e32 v[40:41], v[4:5], v[0:1]
	v_mul_f64 v[0:1], v[6:7], v[0:1]
	v_fma_f64 v[0:1], v[4:5], v[2:3], -v[0:1]
	v_mul_f64 v[42:43], v[0:1], s[0:1]
	ds_read_b128 v[0:3], v184 offset:21504
	ds_read_b128 v[4:7], v184 offset:25088
	v_mul_f64 v[40:41], v[40:41], s[0:1]
	v_add_u32_e32 v45, s6, v45
	global_store_dwordx4 v[44:45], v[40:43], off
	s_waitcnt lgkmcnt(1)
	s_nop 0
	v_mul_f64 v[40:41], v[10:11], v[2:3]
	v_fmac_f64_e32 v[40:41], v[8:9], v[0:1]
	v_mul_f64 v[0:1], v[10:11], v[0:1]
	v_fma_f64 v[0:1], v[8:9], v[2:3], -v[0:1]
	v_mad_u64_u32 v[8:9], s[2:3], s4, v46, v[44:45]
	v_mul_f64 v[40:41], v[40:41], s[0:1]
	v_mul_f64 v[42:43], v[0:1], s[0:1]
	v_add_u32_e32 v9, s6, v9
	v_mov_b32_e32 v10, 0xffffba00
	global_store_dwordx4 v[8:9], v[40:43], off
	v_mad_u64_u32 v[8:9], s[2:3], s4, v10, v[8:9]
	v_mul_f64 v[0:1], v[18:19], v[38:39]
	v_mul_f64 v[2:3], v[18:19], v[36:37]
	s_mul_i32 s2, s5, 0xffffba00
	v_fmac_f64_e32 v[0:1], v[16:17], v[36:37]
	v_fma_f64 v[2:3], v[16:17], v[38:39], -v[2:3]
	s_sub_i32 s2, s2, s4
	v_mul_f64 v[0:1], v[0:1], s[0:1]
	v_mul_f64 v[2:3], v[2:3], s[0:1]
	v_add_u32_e32 v9, s2, v9
	global_store_dwordx4 v[8:9], v[0:3], off
	v_mad_u64_u32 v[8:9], s[2:3], s4, v46, v[8:9]
	s_nop 0
	v_mul_f64 v[0:1], v[22:23], v[34:35]
	v_mul_f64 v[2:3], v[22:23], v[32:33]
	v_fmac_f64_e32 v[0:1], v[20:21], v[32:33]
	v_fma_f64 v[2:3], v[20:21], v[34:35], -v[2:3]
	v_mul_f64 v[0:1], v[0:1], s[0:1]
	v_mul_f64 v[2:3], v[2:3], s[0:1]
	v_add_u32_e32 v9, s6, v9
	global_store_dwordx4 v[8:9], v[0:3], off
	v_mad_u64_u32 v[8:9], s[2:3], s4, v46, v[8:9]
	s_nop 0
	v_mul_f64 v[0:1], v[26:27], v[14:15]
	v_mul_f64 v[2:3], v[26:27], v[12:13]
	v_fmac_f64_e32 v[0:1], v[24:25], v[12:13]
	v_fma_f64 v[2:3], v[24:25], v[14:15], -v[2:3]
	v_mul_f64 v[0:1], v[0:1], s[0:1]
	v_mul_f64 v[2:3], v[2:3], s[0:1]
	v_add_u32_e32 v9, s6, v9
	global_store_dwordx4 v[8:9], v[0:3], off
	s_waitcnt lgkmcnt(0)
	s_nop 0
	v_mul_f64 v[0:1], v[30:31], v[6:7]
	v_mul_f64 v[2:3], v[30:31], v[4:5]
	v_fmac_f64_e32 v[0:1], v[28:29], v[4:5]
	v_fma_f64 v[2:3], v[28:29], v[6:7], -v[2:3]
	v_mul_f64 v[0:1], v[0:1], s[0:1]
	v_mul_f64 v[2:3], v[2:3], s[0:1]
	v_mad_u64_u32 v[4:5], s[0:1], s4, v46, v[8:9]
	v_add_u32_e32 v5, s6, v5
	global_store_dwordx4 v[4:5], v[0:3], off
.LBB0_10:
	s_endpgm
	.section	.rodata,"a",@progbits
	.p2align	6, 0x0
	.amdhsa_kernel bluestein_single_back_len1792_dim1_dp_op_CI_CI
		.amdhsa_group_segment_fixed_size 28672
		.amdhsa_private_segment_fixed_size 0
		.amdhsa_kernarg_size 104
		.amdhsa_user_sgpr_count 2
		.amdhsa_user_sgpr_dispatch_ptr 0
		.amdhsa_user_sgpr_queue_ptr 0
		.amdhsa_user_sgpr_kernarg_segment_ptr 1
		.amdhsa_user_sgpr_dispatch_id 0
		.amdhsa_user_sgpr_kernarg_preload_length 0
		.amdhsa_user_sgpr_kernarg_preload_offset 0
		.amdhsa_user_sgpr_private_segment_size 0
		.amdhsa_uses_dynamic_stack 0
		.amdhsa_enable_private_segment 0
		.amdhsa_system_sgpr_workgroup_id_x 1
		.amdhsa_system_sgpr_workgroup_id_y 0
		.amdhsa_system_sgpr_workgroup_id_z 0
		.amdhsa_system_sgpr_workgroup_info 0
		.amdhsa_system_vgpr_workitem_id 0
		.amdhsa_next_free_vgpr 242
		.amdhsa_next_free_sgpr 28
		.amdhsa_accum_offset 244
		.amdhsa_reserve_vcc 1
		.amdhsa_float_round_mode_32 0
		.amdhsa_float_round_mode_16_64 0
		.amdhsa_float_denorm_mode_32 3
		.amdhsa_float_denorm_mode_16_64 3
		.amdhsa_dx10_clamp 1
		.amdhsa_ieee_mode 1
		.amdhsa_fp16_overflow 0
		.amdhsa_tg_split 0
		.amdhsa_exception_fp_ieee_invalid_op 0
		.amdhsa_exception_fp_denorm_src 0
		.amdhsa_exception_fp_ieee_div_zero 0
		.amdhsa_exception_fp_ieee_overflow 0
		.amdhsa_exception_fp_ieee_underflow 0
		.amdhsa_exception_fp_ieee_inexact 0
		.amdhsa_exception_int_div_zero 0
	.end_amdhsa_kernel
	.text
.Lfunc_end0:
	.size	bluestein_single_back_len1792_dim1_dp_op_CI_CI, .Lfunc_end0-bluestein_single_back_len1792_dim1_dp_op_CI_CI
                                        ; -- End function
	.section	.AMDGPU.csdata,"",@progbits
; Kernel info:
; codeLenInByte = 11044
; NumSgprs: 34
; NumVgprs: 242
; NumAgprs: 0
; TotalNumVgprs: 242
; ScratchSize: 0
; MemoryBound: 0
; FloatMode: 240
; IeeeMode: 1
; LDSByteSize: 28672 bytes/workgroup (compile time only)
; SGPRBlocks: 4
; VGPRBlocks: 30
; NumSGPRsForWavesPerEU: 34
; NumVGPRsForWavesPerEU: 242
; AccumOffset: 244
; Occupancy: 2
; WaveLimiterHint : 1
; COMPUTE_PGM_RSRC2:SCRATCH_EN: 0
; COMPUTE_PGM_RSRC2:USER_SGPR: 2
; COMPUTE_PGM_RSRC2:TRAP_HANDLER: 0
; COMPUTE_PGM_RSRC2:TGID_X_EN: 1
; COMPUTE_PGM_RSRC2:TGID_Y_EN: 0
; COMPUTE_PGM_RSRC2:TGID_Z_EN: 0
; COMPUTE_PGM_RSRC2:TIDIG_COMP_CNT: 0
; COMPUTE_PGM_RSRC3_GFX90A:ACCUM_OFFSET: 60
; COMPUTE_PGM_RSRC3_GFX90A:TG_SPLIT: 0
	.text
	.p2alignl 6, 3212836864
	.fill 256, 4, 3212836864
	.type	__hip_cuid_ff9e0880bd1acdf1,@object ; @__hip_cuid_ff9e0880bd1acdf1
	.section	.bss,"aw",@nobits
	.globl	__hip_cuid_ff9e0880bd1acdf1
__hip_cuid_ff9e0880bd1acdf1:
	.byte	0                               ; 0x0
	.size	__hip_cuid_ff9e0880bd1acdf1, 1

	.ident	"AMD clang version 19.0.0git (https://github.com/RadeonOpenCompute/llvm-project roc-6.4.0 25133 c7fe45cf4b819c5991fe208aaa96edf142730f1d)"
	.section	".note.GNU-stack","",@progbits
	.addrsig
	.addrsig_sym __hip_cuid_ff9e0880bd1acdf1
	.amdgpu_metadata
---
amdhsa.kernels:
  - .agpr_count:     0
    .args:
      - .actual_access:  read_only
        .address_space:  global
        .offset:         0
        .size:           8
        .value_kind:     global_buffer
      - .actual_access:  read_only
        .address_space:  global
        .offset:         8
        .size:           8
        .value_kind:     global_buffer
      - .actual_access:  read_only
        .address_space:  global
        .offset:         16
        .size:           8
        .value_kind:     global_buffer
      - .actual_access:  read_only
        .address_space:  global
        .offset:         24
        .size:           8
        .value_kind:     global_buffer
      - .actual_access:  read_only
        .address_space:  global
        .offset:         32
        .size:           8
        .value_kind:     global_buffer
      - .offset:         40
        .size:           8
        .value_kind:     by_value
      - .address_space:  global
        .offset:         48
        .size:           8
        .value_kind:     global_buffer
      - .address_space:  global
        .offset:         56
        .size:           8
        .value_kind:     global_buffer
      - .address_space:  global
        .offset:         64
        .size:           8
        .value_kind:     global_buffer
      - .address_space:  global
        .offset:         72
        .size:           8
        .value_kind:     global_buffer
      - .offset:         80
        .size:           4
        .value_kind:     by_value
      - .address_space:  global
        .offset:         88
        .size:           8
        .value_kind:     global_buffer
      - .address_space:  global
        .offset:         96
        .size:           8
        .value_kind:     global_buffer
    .group_segment_fixed_size: 28672
    .kernarg_segment_align: 8
    .kernarg_segment_size: 104
    .language:       OpenCL C
    .language_version:
      - 2
      - 0
    .max_flat_workgroup_size: 224
    .name:           bluestein_single_back_len1792_dim1_dp_op_CI_CI
    .private_segment_fixed_size: 0
    .sgpr_count:     34
    .sgpr_spill_count: 0
    .symbol:         bluestein_single_back_len1792_dim1_dp_op_CI_CI.kd
    .uniform_work_group_size: 1
    .uses_dynamic_stack: false
    .vgpr_count:     242
    .vgpr_spill_count: 0
    .wavefront_size: 64
amdhsa.target:   amdgcn-amd-amdhsa--gfx950
amdhsa.version:
  - 1
  - 2
...

	.end_amdgpu_metadata
